;; amdgpu-corpus repo=ROCm/rocFFT kind=compiled arch=gfx906 opt=O3
	.text
	.amdgcn_target "amdgcn-amd-amdhsa--gfx906"
	.amdhsa_code_object_version 6
	.protected	fft_rtc_back_len495_factors_11_9_5_wgs_55_tpt_55_sp_ip_CI_sbrr_dirReg ; -- Begin function fft_rtc_back_len495_factors_11_9_5_wgs_55_tpt_55_sp_ip_CI_sbrr_dirReg
	.globl	fft_rtc_back_len495_factors_11_9_5_wgs_55_tpt_55_sp_ip_CI_sbrr_dirReg
	.p2align	8
	.type	fft_rtc_back_len495_factors_11_9_5_wgs_55_tpt_55_sp_ip_CI_sbrr_dirReg,@function
fft_rtc_back_len495_factors_11_9_5_wgs_55_tpt_55_sp_ip_CI_sbrr_dirReg: ; @fft_rtc_back_len495_factors_11_9_5_wgs_55_tpt_55_sp_ip_CI_sbrr_dirReg
; %bb.0:
	s_load_dwordx2 s[2:3], s[4:5], 0x18
	s_load_dwordx4 s[8:11], s[4:5], 0x0
	s_load_dwordx2 s[14:15], s[4:5], 0x50
	v_mul_u32_u24_e32 v1, 0x4a8, v0
	v_add_u32_sdwa v5, s6, v1 dst_sel:DWORD dst_unused:UNUSED_PAD src0_sel:DWORD src1_sel:WORD_1
	s_waitcnt lgkmcnt(0)
	s_load_dwordx2 s[12:13], s[2:3], 0x0
	v_cmp_lt_u64_e64 s[0:1], s[10:11], 2
	v_mov_b32_e32 v3, 0
	v_mov_b32_e32 v1, 0
	;; [unrolled: 1-line block ×3, first 2 shown]
	s_and_b64 vcc, exec, s[0:1]
	v_mov_b32_e32 v2, 0
	s_cbranch_vccnz .LBB0_8
; %bb.1:
	s_load_dwordx2 s[0:1], s[4:5], 0x10
	s_add_u32 s6, s2, 8
	s_addc_u32 s7, s3, 0
	v_mov_b32_e32 v1, 0
	v_mov_b32_e32 v2, 0
	s_waitcnt lgkmcnt(0)
	s_add_u32 s16, s0, 8
	s_addc_u32 s17, s1, 0
	s_mov_b64 s[18:19], 1
.LBB0_2:                                ; =>This Inner Loop Header: Depth=1
	s_load_dwordx2 s[20:21], s[16:17], 0x0
                                        ; implicit-def: $vgpr7_vgpr8
	s_waitcnt lgkmcnt(0)
	v_or_b32_e32 v4, s21, v6
	v_cmp_ne_u64_e32 vcc, 0, v[3:4]
	s_and_saveexec_b64 s[0:1], vcc
	s_xor_b64 s[22:23], exec, s[0:1]
	s_cbranch_execz .LBB0_4
; %bb.3:                                ;   in Loop: Header=BB0_2 Depth=1
	v_cvt_f32_u32_e32 v4, s20
	v_cvt_f32_u32_e32 v7, s21
	s_sub_u32 s0, 0, s20
	s_subb_u32 s1, 0, s21
	v_mac_f32_e32 v4, 0x4f800000, v7
	v_rcp_f32_e32 v4, v4
	v_mul_f32_e32 v4, 0x5f7ffffc, v4
	v_mul_f32_e32 v7, 0x2f800000, v4
	v_trunc_f32_e32 v7, v7
	v_mac_f32_e32 v4, 0xcf800000, v7
	v_cvt_u32_f32_e32 v7, v7
	v_cvt_u32_f32_e32 v4, v4
	v_mul_lo_u32 v8, s0, v7
	v_mul_hi_u32 v9, s0, v4
	v_mul_lo_u32 v11, s1, v4
	v_mul_lo_u32 v10, s0, v4
	v_add_u32_e32 v8, v9, v8
	v_add_u32_e32 v8, v8, v11
	v_mul_hi_u32 v9, v4, v10
	v_mul_lo_u32 v11, v4, v8
	v_mul_hi_u32 v13, v4, v8
	v_mul_hi_u32 v12, v7, v10
	v_mul_lo_u32 v10, v7, v10
	v_mul_hi_u32 v14, v7, v8
	v_add_co_u32_e32 v9, vcc, v9, v11
	v_addc_co_u32_e32 v11, vcc, 0, v13, vcc
	v_mul_lo_u32 v8, v7, v8
	v_add_co_u32_e32 v9, vcc, v9, v10
	v_addc_co_u32_e32 v9, vcc, v11, v12, vcc
	v_addc_co_u32_e32 v10, vcc, 0, v14, vcc
	v_add_co_u32_e32 v8, vcc, v9, v8
	v_addc_co_u32_e32 v9, vcc, 0, v10, vcc
	v_add_co_u32_e32 v4, vcc, v4, v8
	v_addc_co_u32_e32 v7, vcc, v7, v9, vcc
	v_mul_lo_u32 v8, s0, v7
	v_mul_hi_u32 v9, s0, v4
	v_mul_lo_u32 v10, s1, v4
	v_mul_lo_u32 v11, s0, v4
	v_add_u32_e32 v8, v9, v8
	v_add_u32_e32 v8, v8, v10
	v_mul_lo_u32 v12, v4, v8
	v_mul_hi_u32 v13, v4, v11
	v_mul_hi_u32 v14, v4, v8
	;; [unrolled: 1-line block ×3, first 2 shown]
	v_mul_lo_u32 v11, v7, v11
	v_mul_hi_u32 v9, v7, v8
	v_add_co_u32_e32 v12, vcc, v13, v12
	v_addc_co_u32_e32 v13, vcc, 0, v14, vcc
	v_mul_lo_u32 v8, v7, v8
	v_add_co_u32_e32 v11, vcc, v12, v11
	v_addc_co_u32_e32 v10, vcc, v13, v10, vcc
	v_addc_co_u32_e32 v9, vcc, 0, v9, vcc
	v_add_co_u32_e32 v8, vcc, v10, v8
	v_addc_co_u32_e32 v9, vcc, 0, v9, vcc
	v_add_co_u32_e32 v4, vcc, v4, v8
	v_addc_co_u32_e32 v9, vcc, v7, v9, vcc
	v_mad_u64_u32 v[7:8], s[0:1], v5, v9, 0
	v_mul_hi_u32 v10, v5, v4
	v_add_co_u32_e32 v11, vcc, v10, v7
	v_addc_co_u32_e32 v12, vcc, 0, v8, vcc
	v_mad_u64_u32 v[7:8], s[0:1], v6, v4, 0
	v_mad_u64_u32 v[9:10], s[0:1], v6, v9, 0
	v_add_co_u32_e32 v4, vcc, v11, v7
	v_addc_co_u32_e32 v4, vcc, v12, v8, vcc
	v_addc_co_u32_e32 v7, vcc, 0, v10, vcc
	v_add_co_u32_e32 v4, vcc, v4, v9
	v_addc_co_u32_e32 v9, vcc, 0, v7, vcc
	v_mul_lo_u32 v10, s21, v4
	v_mul_lo_u32 v11, s20, v9
	v_mad_u64_u32 v[7:8], s[0:1], s20, v4, 0
	v_add3_u32 v8, v8, v11, v10
	v_sub_u32_e32 v10, v6, v8
	v_mov_b32_e32 v11, s21
	v_sub_co_u32_e32 v7, vcc, v5, v7
	v_subb_co_u32_e64 v10, s[0:1], v10, v11, vcc
	v_subrev_co_u32_e64 v11, s[0:1], s20, v7
	v_subbrev_co_u32_e64 v10, s[0:1], 0, v10, s[0:1]
	v_cmp_le_u32_e64 s[0:1], s21, v10
	v_cndmask_b32_e64 v12, 0, -1, s[0:1]
	v_cmp_le_u32_e64 s[0:1], s20, v11
	v_cndmask_b32_e64 v11, 0, -1, s[0:1]
	v_cmp_eq_u32_e64 s[0:1], s21, v10
	v_cndmask_b32_e64 v10, v12, v11, s[0:1]
	v_add_co_u32_e64 v11, s[0:1], 2, v4
	v_addc_co_u32_e64 v12, s[0:1], 0, v9, s[0:1]
	v_add_co_u32_e64 v13, s[0:1], 1, v4
	v_addc_co_u32_e64 v14, s[0:1], 0, v9, s[0:1]
	v_subb_co_u32_e32 v8, vcc, v6, v8, vcc
	v_cmp_ne_u32_e64 s[0:1], 0, v10
	v_cmp_le_u32_e32 vcc, s21, v8
	v_cndmask_b32_e64 v10, v14, v12, s[0:1]
	v_cndmask_b32_e64 v12, 0, -1, vcc
	v_cmp_le_u32_e32 vcc, s20, v7
	v_cndmask_b32_e64 v7, 0, -1, vcc
	v_cmp_eq_u32_e32 vcc, s21, v8
	v_cndmask_b32_e32 v7, v12, v7, vcc
	v_cmp_ne_u32_e32 vcc, 0, v7
	v_cndmask_b32_e64 v7, v13, v11, s[0:1]
	v_cndmask_b32_e32 v8, v9, v10, vcc
	v_cndmask_b32_e32 v7, v4, v7, vcc
.LBB0_4:                                ;   in Loop: Header=BB0_2 Depth=1
	s_andn2_saveexec_b64 s[0:1], s[22:23]
	s_cbranch_execz .LBB0_6
; %bb.5:                                ;   in Loop: Header=BB0_2 Depth=1
	v_cvt_f32_u32_e32 v4, s20
	s_sub_i32 s22, 0, s20
	v_rcp_iflag_f32_e32 v4, v4
	v_mul_f32_e32 v4, 0x4f7ffffe, v4
	v_cvt_u32_f32_e32 v4, v4
	v_mul_lo_u32 v7, s22, v4
	v_mul_hi_u32 v7, v4, v7
	v_add_u32_e32 v4, v4, v7
	v_mul_hi_u32 v4, v5, v4
	v_mul_lo_u32 v7, v4, s20
	v_add_u32_e32 v8, 1, v4
	v_sub_u32_e32 v7, v5, v7
	v_subrev_u32_e32 v9, s20, v7
	v_cmp_le_u32_e32 vcc, s20, v7
	v_cndmask_b32_e32 v7, v7, v9, vcc
	v_cndmask_b32_e32 v4, v4, v8, vcc
	v_add_u32_e32 v8, 1, v4
	v_cmp_le_u32_e32 vcc, s20, v7
	v_cndmask_b32_e32 v7, v4, v8, vcc
	v_mov_b32_e32 v8, v3
.LBB0_6:                                ;   in Loop: Header=BB0_2 Depth=1
	s_or_b64 exec, exec, s[0:1]
	v_mul_lo_u32 v4, v8, s20
	v_mul_lo_u32 v11, v7, s21
	v_mad_u64_u32 v[9:10], s[0:1], v7, s20, 0
	s_load_dwordx2 s[0:1], s[6:7], 0x0
	s_add_u32 s18, s18, 1
	v_add3_u32 v4, v10, v11, v4
	v_sub_co_u32_e32 v5, vcc, v5, v9
	v_subb_co_u32_e32 v4, vcc, v6, v4, vcc
	s_waitcnt lgkmcnt(0)
	v_mul_lo_u32 v4, s0, v4
	v_mul_lo_u32 v6, s1, v5
	v_mad_u64_u32 v[1:2], s[0:1], s0, v5, v[1:2]
	s_addc_u32 s19, s19, 0
	s_add_u32 s6, s6, 8
	v_add3_u32 v2, v6, v2, v4
	v_mov_b32_e32 v4, s10
	v_mov_b32_e32 v5, s11
	s_addc_u32 s7, s7, 0
	v_cmp_ge_u64_e32 vcc, s[18:19], v[4:5]
	s_add_u32 s16, s16, 8
	s_addc_u32 s17, s17, 0
	s_cbranch_vccnz .LBB0_9
; %bb.7:                                ;   in Loop: Header=BB0_2 Depth=1
	v_mov_b32_e32 v5, v7
	v_mov_b32_e32 v6, v8
	s_branch .LBB0_2
.LBB0_8:
	v_mov_b32_e32 v8, v6
	v_mov_b32_e32 v7, v5
.LBB0_9:
	s_lshl_b64 s[0:1], s[10:11], 3
	s_add_u32 s0, s2, s0
	s_addc_u32 s1, s3, s1
	s_load_dwordx2 s[2:3], s[0:1], 0x0
	s_load_dwordx2 s[6:7], s[4:5], 0x20
	s_waitcnt lgkmcnt(0)
	v_mad_u64_u32 v[1:2], s[0:1], s2, v7, v[1:2]
	s_mov_b32 s0, 0x4a7904b
	v_mul_lo_u32 v3, s2, v8
	v_mul_lo_u32 v4, s3, v7
	v_mul_hi_u32 v5, v0, s0
	v_cmp_gt_u64_e32 vcc, s[6:7], v[7:8]
	v_add3_u32 v2, v4, v2, v3
	v_mul_u32_u24_e32 v3, 55, v5
	v_sub_u32_e32 v27, v0, v3
	v_lshlrev_b64 v[20:21], 3, v[1:2]
	v_lshl_add_u32 v26, v27, 3, 0
	v_add_u32_e32 v28, 55, v27
	s_and_saveexec_b64 s[2:3], vcc
	s_cbranch_execz .LBB0_11
; %bb.10:
	v_mad_u64_u32 v[0:1], s[0:1], s12, v27, 0
	v_mov_b32_e32 v4, s15
	v_add_u32_e32 v8, 0x6e, v27
	v_mad_u64_u32 v[1:2], s[0:1], s13, v27, v[1:2]
	v_mad_u64_u32 v[2:3], s[0:1], s12, v28, 0
	v_add_co_u32_e64 v22, s[0:1], s14, v20
	v_addc_co_u32_e64 v23, s[0:1], v4, v21, s[0:1]
	v_mad_u64_u32 v[3:4], s[0:1], s13, v28, v[3:4]
	v_lshlrev_b64 v[0:1], 3, v[0:1]
	v_add_u32_e32 v10, 0xa5, v27
	v_add_co_u32_e64 v0, s[0:1], v22, v0
	v_lshlrev_b64 v[2:3], 3, v[2:3]
	v_addc_co_u32_e64 v1, s[0:1], v23, v1, s[0:1]
	v_add_co_u32_e64 v2, s[0:1], v22, v2
	v_addc_co_u32_e64 v3, s[0:1], v23, v3, s[0:1]
	v_mad_u64_u32 v[4:5], s[0:1], s12, v8, 0
	v_mad_u64_u32 v[6:7], s[0:1], s12, v10, 0
	v_add_u32_e32 v18, 0xdc, v27
	v_add_u32_e32 v19, 0x113, v27
	v_mad_u64_u32 v[8:9], s[0:1], s13, v8, v[5:6]
	v_mov_b32_e32 v5, v7
	v_mad_u64_u32 v[9:10], s[0:1], s13, v10, v[5:6]
	v_mov_b32_e32 v5, v8
	v_lshlrev_b64 v[4:5], 3, v[4:5]
	v_mov_b32_e32 v7, v9
	v_lshlrev_b64 v[6:7], 3, v[6:7]
	v_add_co_u32_e64 v4, s[0:1], v22, v4
	v_addc_co_u32_e64 v5, s[0:1], v23, v5, s[0:1]
	v_add_co_u32_e64 v6, s[0:1], v22, v6
	v_addc_co_u32_e64 v7, s[0:1], v23, v7, s[0:1]
	global_load_dwordx2 v[10:11], v[0:1], off
	global_load_dwordx2 v[12:13], v[2:3], off
	;; [unrolled: 1-line block ×4, first 2 shown]
	v_mad_u64_u32 v[8:9], s[0:1], s12, v18, 0
	v_add_u32_e32 v7, 0x14a, v27
	v_mad_u64_u32 v[0:1], s[0:1], s12, v19, 0
	v_mov_b32_e32 v2, v9
	v_mad_u64_u32 v[2:3], s[0:1], s13, v18, v[2:3]
	v_mad_u64_u32 v[3:4], s[0:1], s12, v7, 0
	;; [unrolled: 1-line block ×3, first 2 shown]
	v_mov_b32_e32 v1, v4
	v_mad_u64_u32 v[6:7], s[0:1], s13, v7, v[1:2]
	v_mov_b32_e32 v9, v2
	v_mov_b32_e32 v1, v5
	;; [unrolled: 1-line block ×3, first 2 shown]
	v_lshlrev_b64 v[5:6], 3, v[8:9]
	v_add_u32_e32 v18, 0x181, v27
	v_lshlrev_b64 v[2:3], 3, v[3:4]
	v_add_co_u32_e64 v4, s[0:1], v22, v5
	v_addc_co_u32_e64 v5, s[0:1], v23, v6, s[0:1]
	v_mad_u64_u32 v[6:7], s[0:1], s12, v18, 0
	v_lshlrev_b64 v[0:1], 3, v[0:1]
	v_add_co_u32_e64 v0, s[0:1], v22, v0
	v_addc_co_u32_e64 v1, s[0:1], v23, v1, s[0:1]
	v_mad_u64_u32 v[7:8], s[0:1], s13, v18, v[7:8]
	v_add_u32_e32 v18, 0x1b8, v27
	v_mad_u64_u32 v[8:9], s[0:1], s12, v18, 0
	v_add_co_u32_e64 v2, s[0:1], v22, v2
	v_addc_co_u32_e64 v3, s[0:1], v23, v3, s[0:1]
	v_lshlrev_b64 v[6:7], 3, v[6:7]
	s_waitcnt vmcnt(3)
	v_mad_u64_u32 v[18:19], s[0:1], s13, v18, v[9:10]
	v_add_co_u32_e64 v6, s[0:1], v22, v6
	v_mov_b32_e32 v9, v18
	v_lshlrev_b64 v[8:9], 3, v[8:9]
	v_addc_co_u32_e64 v7, s[0:1], v23, v7, s[0:1]
	v_add_co_u32_e64 v8, s[0:1], v22, v8
	v_addc_co_u32_e64 v9, s[0:1], v23, v9, s[0:1]
	global_load_dwordx2 v[18:19], v[4:5], off
	global_load_dwordx2 v[22:23], v[0:1], off
	;; [unrolled: 1-line block ×5, first 2 shown]
	v_add_u32_e32 v0, 0x400, v26
	s_waitcnt vmcnt(7)
	ds_write2_b64 v26, v[10:11], v[12:13] offset1:55
	s_waitcnt vmcnt(5)
	ds_write2_b64 v26, v[14:15], v[16:17] offset0:110 offset1:165
	s_waitcnt vmcnt(3)
	ds_write2_b64 v0, v[18:19], v[22:23] offset0:92 offset1:147
	v_add_u32_e32 v0, 0x800, v26
	s_waitcnt vmcnt(1)
	ds_write2_b64 v0, v[24:25], v[29:30] offset0:74 offset1:129
	s_waitcnt vmcnt(0)
	ds_write_b64 v26, v[31:32] offset:3520
.LBB0_11:
	s_or_b64 exec, exec, s[2:3]
	v_add_u32_e32 v29, 0x800, v26
	s_waitcnt lgkmcnt(0)
	; wave barrier
	s_waitcnt lgkmcnt(0)
	ds_read2_b64 v[0:3], v26 offset1:45
	ds_read_b64 v[24:25], v26 offset:3600
	ds_read2_b64 v[8:11], v26 offset0:90 offset1:135
	ds_read2_b64 v[4:7], v29 offset0:104 offset1:149
	s_mov_b32 s4, 0x3ed4b147
	s_mov_b32 s5, 0xbf27a4f4
	s_waitcnt lgkmcnt(2)
	v_sub_f32_e32 v40, v3, v25
	v_add_f32_e32 v30, v24, v2
	v_mul_f32_e32 v45, 0xbf68dda4, v40
	s_waitcnt lgkmcnt(0)
	v_sub_f32_e32 v41, v9, v7
	v_fma_f32 v12, v30, s4, -v45
	v_add_f32_e32 v31, v6, v8
	v_mul_f32_e32 v46, 0xbf4178ce, v41
	v_add_f32_e32 v43, v25, v3
	v_add_f32_e32 v12, v0, v12
	v_fma_f32 v13, v31, s5, -v46
	v_mul_f32_e32 v51, 0x3ed4b147, v43
	v_add_f32_e32 v44, v7, v9
	v_add_f32_e32 v12, v13, v12
	v_sub_f32_e32 v33, v2, v24
	v_mov_b32_e32 v13, v51
	v_mul_f32_e32 v54, 0xbf27a4f4, v44
	v_fmac_f32_e32 v13, 0xbf68dda4, v33
	v_sub_f32_e32 v34, v8, v6
	v_mov_b32_e32 v14, v54
	v_sub_f32_e32 v42, v11, v5
	v_add_f32_e32 v13, v1, v13
	v_fmac_f32_e32 v14, 0xbf4178ce, v34
	s_mov_b32 s6, 0xbf75a155
	v_add_f32_e32 v32, v4, v10
	v_mul_f32_e32 v50, 0x3e903f40, v42
	v_add_f32_e32 v22, v14, v13
	v_fma_f32 v13, v32, s6, -v50
	v_add_f32_e32 v23, v13, v12
	ds_read2_b64 v[16:19], v26 offset0:180 offset1:225
	ds_read2_b64 v[12:15], v29 offset0:14 offset1:59
	v_add_f32_e32 v48, v5, v11
	v_mul_f32_e32 v55, 0xbf75a155, v48
	v_sub_f32_e32 v35, v10, v4
	v_mov_b32_e32 v36, v55
	v_fmac_f32_e32 v36, 0x3e903f40, v35
	s_waitcnt lgkmcnt(0)
	v_sub_f32_e32 v47, v17, v15
	v_add_f32_e32 v22, v36, v22
	s_mov_b32 s7, 0xbe11bafb
	v_add_f32_e32 v36, v14, v16
	v_mul_f32_e32 v56, 0x3f7d64f0, v47
	v_add_f32_e32 v53, v15, v17
	v_fma_f32 v37, v36, s7, -v56
	v_mul_f32_e32 v58, 0xbe11bafb, v53
	v_add_f32_e32 v23, v37, v23
	v_sub_f32_e32 v38, v16, v14
	v_mov_b32_e32 v37, v58
	v_fmac_f32_e32 v37, 0x3f7d64f0, v38
	v_sub_f32_e32 v49, v19, v13
	v_add_f32_e32 v60, v37, v22
	s_mov_b32 s10, 0x3f575c64
	v_add_f32_e32 v37, v12, v18
	v_mul_f32_e32 v57, 0x3f0a6770, v49
	v_add_f32_e32 v52, v13, v19
	v_fma_f32 v22, v37, s10, -v57
	v_mul_f32_e32 v59, 0x3f575c64, v52
	v_add_f32_e32 v22, v22, v23
	v_sub_f32_e32 v39, v18, v12
	v_mov_b32_e32 v23, v59
	v_fmac_f32_e32 v23, 0x3f0a6770, v39
	v_add_f32_e32 v23, v23, v60
	v_cmp_gt_u32_e64 s[0:1], 45, v27
	s_waitcnt lgkmcnt(0)
	; wave barrier
	s_and_saveexec_b64 s[2:3], s[0:1]
	s_cbranch_execz .LBB0_13
; %bb.12:
	v_add_f32_e32 v3, v1, v3
	v_add_f32_e32 v3, v3, v9
	;; [unrolled: 1-line block ×13, first 2 shown]
	v_mul_f32_e32 v19, 0xbe903f40, v40
	v_add_f32_e32 v3, v3, v5
	v_add_f32_e32 v2, v2, v14
	;; [unrolled: 1-line block ×3, first 2 shown]
	v_mov_b32_e32 v3, v19
	v_mul_f32_e32 v60, 0x3f0a6770, v41
	v_add_f32_e32 v2, v2, v4
	v_fmac_f32_e32 v3, 0xbf75a155, v30
	v_mov_b32_e32 v4, v60
	v_add_f32_e32 v2, v2, v6
	v_add_f32_e32 v3, v0, v3
	v_fmac_f32_e32 v4, 0x3f575c64, v31
	v_add_f32_e32 v6, v4, v3
	v_add_f32_e32 v4, v2, v24
	v_mul_f32_e32 v24, 0xbf4178ce, v42
	v_mov_b32_e32 v2, v24
	v_add_f32_e32 v5, v5, v25
	v_fmac_f32_e32 v2, 0xbf27a4f4, v32
	v_mul_f32_e32 v25, 0x3f68dda4, v47
	v_add_f32_e32 v2, v2, v6
	v_mov_b32_e32 v6, v25
	v_fmac_f32_e32 v6, 0x3ed4b147, v36
	v_mul_f32_e32 v61, 0xbf7d64f0, v49
	v_add_f32_e32 v2, v6, v2
	v_mov_b32_e32 v6, v61
	v_mul_f32_e32 v16, 0xbf75a155, v43
	v_fmac_f32_e32 v6, 0xbe11bafb, v37
	v_mul_f32_e32 v62, 0xbf27a4f4, v43
	v_mov_b32_e32 v8, v16
	v_mul_f32_e32 v17, 0x3f575c64, v44
	v_add_f32_e32 v2, v6, v2
	v_mov_b32_e32 v6, v62
	v_mul_f32_e32 v63, 0xbe11bafb, v44
	v_fmac_f32_e32 v8, 0x3e903f40, v33
	v_mov_b32_e32 v9, v17
	v_fmac_f32_e32 v6, 0x3f4178ce, v33
	v_mov_b32_e32 v7, v63
	v_add_f32_e32 v8, v1, v8
	v_fmac_f32_e32 v9, 0xbf0a6770, v34
	v_mul_f32_e32 v14, 0xbf27a4f4, v48
	v_add_f32_e32 v6, v1, v6
	v_fmac_f32_e32 v7, 0xbf7d64f0, v34
	v_mul_f32_e32 v64, 0x3f575c64, v48
	v_add_f32_e32 v8, v9, v8
	v_mov_b32_e32 v9, v14
	v_add_f32_e32 v6, v7, v6
	v_mov_b32_e32 v7, v64
	v_fmac_f32_e32 v9, 0x3f4178ce, v35
	v_mul_f32_e32 v15, 0x3ed4b147, v53
	v_fmac_f32_e32 v7, 0x3f0a6770, v35
	v_mul_f32_e32 v65, 0xbf75a155, v53
	v_add_f32_e32 v8, v9, v8
	v_mov_b32_e32 v9, v15
	v_mul_f32_e32 v18, 0xbe11bafb, v52
	v_add_f32_e32 v6, v7, v6
	v_mov_b32_e32 v7, v65
	v_fmac_f32_e32 v9, 0xbf68dda4, v38
	v_mov_b32_e32 v3, v18
	v_fmac_f32_e32 v7, 0x3e903f40, v38
	v_mul_f32_e32 v66, 0xbf4178ce, v40
	v_add_f32_e32 v8, v9, v8
	v_fmac_f32_e32 v3, 0x3f7d64f0, v39
	v_add_f32_e32 v6, v7, v6
	v_mov_b32_e32 v7, v66
	v_mul_f32_e32 v67, 0x3f7d64f0, v41
	v_add_f32_e32 v3, v3, v8
	v_fmac_f32_e32 v7, 0xbf27a4f4, v30
	v_mov_b32_e32 v8, v67
	v_add_f32_e32 v7, v0, v7
	v_fmac_f32_e32 v8, 0xbe11bafb, v31
	v_mul_f32_e32 v68, 0xbf0a6770, v42
	v_add_f32_e32 v7, v8, v7
	v_mov_b32_e32 v8, v68
	v_fmac_f32_e32 v8, 0x3f575c64, v32
	v_mul_f32_e32 v69, 0xbe903f40, v47
	v_add_f32_e32 v7, v8, v7
	v_mov_b32_e32 v8, v69
	;; [unrolled: 4-line block ×5, first 2 shown]
	v_mul_f32_e32 v73, 0xbf75a155, v44
	v_fmac_f32_e32 v8, 0x3f7d64f0, v33
	v_mov_b32_e32 v9, v73
	v_add_f32_e32 v8, v1, v8
	v_fmac_f32_e32 v9, 0xbe903f40, v34
	v_mul_f32_e32 v74, 0x3ed4b147, v48
	v_add_f32_e32 v8, v9, v8
	v_mov_b32_e32 v9, v74
	v_fmac_f32_e32 v9, 0xbf68dda4, v35
	v_mul_f32_e32 v75, 0x3f575c64, v53
	v_add_f32_e32 v8, v9, v8
	v_mov_b32_e32 v9, v75
	;; [unrolled: 4-line block ×3, first 2 shown]
	v_mul_f32_e32 v77, 0x3e903f40, v41
	v_fmac_f32_e32 v9, 0xbe11bafb, v30
	v_mov_b32_e32 v10, v77
	v_add_f32_e32 v9, v0, v9
	v_fmac_f32_e32 v10, 0xbf75a155, v31
	v_mul_f32_e32 v78, 0x3f68dda4, v42
	v_add_f32_e32 v9, v10, v9
	v_mov_b32_e32 v10, v78
	v_fmac_f32_e32 v10, 0x3ed4b147, v32
	v_mul_f32_e32 v79, 0xbf0a6770, v47
	v_add_f32_e32 v9, v10, v9
	v_mov_b32_e32 v10, v79
	;; [unrolled: 4-line block ×4, first 2 shown]
	v_fmac_f32_e32 v8, 0xbf27a4f4, v37
	v_fmac_f32_e32 v16, 0xbe903f40, v33
	v_add_f32_e32 v8, v8, v10
	v_mul_f32_e32 v10, 0xbf68dda4, v33
	v_mul_f32_e32 v12, 0x3ed4b147, v30
	v_add_f32_e32 v16, v1, v16
	v_fmac_f32_e32 v17, 0x3f0a6770, v34
	v_sub_f32_e32 v10, v51, v10
	v_mul_f32_e32 v11, 0xbf4178ce, v34
	v_add_f32_e32 v12, v12, v45
	v_mul_f32_e32 v13, 0xbf27a4f4, v31
	v_add_f32_e32 v16, v17, v16
	v_fmac_f32_e32 v14, 0xbf4178ce, v35
	v_sub_f32_e32 v11, v54, v11
	v_add_f32_e32 v10, v1, v10
	v_add_f32_e32 v13, v13, v46
	;; [unrolled: 1-line block ×4, first 2 shown]
	v_fmac_f32_e32 v15, 0x3f68dda4, v38
	v_add_f32_e32 v10, v11, v10
	v_mul_f32_e32 v11, 0x3e903f40, v35
	v_add_f32_e32 v12, v13, v12
	v_mul_f32_e32 v13, 0xbf75a155, v32
	v_add_f32_e32 v14, v15, v14
	v_fma_f32 v15, v30, s6, -v19
	v_sub_f32_e32 v11, v55, v11
	v_add_f32_e32 v13, v13, v50
	v_add_f32_e32 v15, v0, v15
	v_fma_f32 v16, v31, s10, -v60
	v_add_f32_e32 v10, v11, v10
	v_mul_f32_e32 v11, 0x3f7d64f0, v38
	v_add_f32_e32 v12, v13, v12
	v_mul_f32_e32 v13, 0xbe11bafb, v36
	v_add_f32_e32 v15, v16, v15
	v_fma_f32 v16, v32, s5, -v24
	v_sub_f32_e32 v11, v58, v11
	v_add_f32_e32 v13, v13, v56
	v_add_f32_e32 v15, v16, v15
	v_fma_f32 v16, v36, s4, -v25
	v_fmac_f32_e32 v18, 0xbf7d64f0, v39
	v_add_f32_e32 v10, v11, v10
	v_mul_f32_e32 v11, 0x3f0a6770, v39
	v_add_f32_e32 v12, v13, v12
	v_mul_f32_e32 v13, 0x3f575c64, v37
	v_add_f32_e32 v16, v16, v15
	v_add_f32_e32 v15, v18, v14
	v_fma_f32 v14, v37, s7, -v61
	v_fmac_f32_e32 v62, 0xbf4178ce, v33
	v_sub_f32_e32 v11, v59, v11
	v_add_f32_e32 v13, v13, v57
	v_mul_f32_e32 v43, 0x3f575c64, v43
	v_add_f32_e32 v14, v14, v16
	v_add_f32_e32 v16, v1, v62
	v_fmac_f32_e32 v63, 0x3f7d64f0, v34
	v_fma_f32 v17, v30, s5, -v66
	v_add_f32_e32 v11, v11, v10
	v_add_f32_e32 v10, v13, v12
	v_mov_b32_e32 v12, v43
	v_mul_f32_e32 v44, 0x3ed4b147, v44
	v_add_f32_e32 v16, v63, v16
	v_fmac_f32_e32 v64, 0xbf0a6770, v35
	v_add_f32_e32 v17, v0, v17
	v_fma_f32 v18, v31, s7, -v67
	v_fmac_f32_e32 v12, 0x3f0a6770, v33
	v_mov_b32_e32 v13, v44
	v_add_f32_e32 v16, v64, v16
	v_fmac_f32_e32 v65, 0xbe903f40, v38
	v_add_f32_e32 v17, v18, v17
	v_fma_f32 v18, v32, s10, -v68
	v_add_f32_e32 v12, v1, v12
	v_fmac_f32_e32 v13, 0x3f68dda4, v34
	v_mul_f32_e32 v45, 0xbe11bafb, v48
	v_add_f32_e32 v16, v65, v16
	v_add_f32_e32 v17, v18, v17
	v_fma_f32 v18, v36, s6, -v69
	v_fmac_f32_e32 v70, 0x3f68dda4, v39
	v_add_f32_e32 v12, v13, v12
	v_mov_b32_e32 v13, v45
	v_add_f32_e32 v18, v18, v17
	v_add_f32_e32 v17, v70, v16
	v_fma_f32 v16, v37, s4, -v71
	v_fmac_f32_e32 v72, 0xbf7d64f0, v33
	v_fmac_f32_e32 v13, 0x3f7d64f0, v35
	v_mul_f32_e32 v46, 0xbf27a4f4, v53
	v_add_f32_e32 v16, v16, v18
	v_add_f32_e32 v18, v1, v72
	v_fmac_f32_e32 v73, 0x3e903f40, v34
	v_add_f32_e32 v12, v13, v12
	v_mov_b32_e32 v13, v46
	v_add_f32_e32 v18, v73, v18
	v_fmac_f32_e32 v74, 0x3f68dda4, v35
	v_fmac_f32_e32 v13, 0x3f4178ce, v38
	v_mul_f32_e32 v40, 0xbf0a6770, v40
	v_add_f32_e32 v18, v74, v18
	v_fmac_f32_e32 v75, 0xbf0a6770, v38
	v_add_f32_e32 v12, v13, v12
	v_mov_b32_e32 v13, v40
	v_mul_f32_e32 v41, 0xbf68dda4, v41
	v_add_f32_e32 v18, v75, v18
	v_fmac_f32_e32 v80, 0xbf4178ce, v39
	v_fmac_f32_e32 v13, 0x3f575c64, v30
	v_mov_b32_e32 v48, v41
	v_add_f32_e32 v19, v80, v18
	v_fma_f32 v18, v30, s7, -v76
	v_add_f32_e32 v13, v0, v13
	v_fmac_f32_e32 v48, 0x3ed4b147, v31
	v_mul_f32_e32 v42, 0xbf7d64f0, v42
	v_add_f32_e32 v18, v0, v18
	v_fma_f32 v24, v31, s6, -v77
	v_add_f32_e32 v13, v48, v13
	v_mov_b32_e32 v48, v42
	v_add_f32_e32 v18, v24, v18
	v_fma_f32 v24, v32, s4, -v78
	v_fmac_f32_e32 v48, 0xbe11bafb, v32
	v_mul_f32_e32 v47, 0xbf4178ce, v47
	v_add_f32_e32 v18, v24, v18
	v_fma_f32 v24, v36, s10, -v79
	v_add_f32_e32 v13, v48, v13
	v_mov_b32_e32 v48, v47
	v_add_f32_e32 v18, v24, v18
	v_fma_f32 v24, v37, s5, -v81
	v_fmac_f32_e32 v48, 0xbf27a4f4, v36
	v_mul_f32_e32 v50, 0xbf75a155, v52
	v_add_f32_e32 v18, v24, v18
	v_fma_f32 v24, v30, s10, -v40
	v_add_f32_e32 v48, v48, v13
	v_mov_b32_e32 v13, v50
	v_fmac_f32_e32 v43, 0xbf0a6770, v33
	v_add_f32_e32 v0, v0, v24
	v_fma_f32 v24, v31, s4, -v41
	v_fmac_f32_e32 v13, 0x3e903f40, v39
	v_mul_f32_e32 v49, 0xbe903f40, v49
	v_add_f32_e32 v1, v1, v43
	v_fmac_f32_e32 v44, 0xbf68dda4, v34
	v_add_f32_e32 v0, v24, v0
	v_fma_f32 v24, v32, s7, -v42
	v_add_f32_e32 v13, v13, v12
	v_mov_b32_e32 v12, v49
	v_add_f32_e32 v1, v44, v1
	v_fmac_f32_e32 v45, 0xbf7d64f0, v35
	v_add_f32_e32 v0, v24, v0
	v_fma_f32 v24, v36, s5, -v47
	v_fmac_f32_e32 v12, 0xbf75a155, v37
	v_add_f32_e32 v1, v45, v1
	v_fmac_f32_e32 v46, 0xbf4178ce, v38
	v_add_f32_e32 v0, v24, v0
	v_fma_f32 v24, v37, s6, -v49
	s_movk_i32 s0, 0x50
	v_add_f32_e32 v12, v12, v48
	v_add_f32_e32 v1, v46, v1
	v_fmac_f32_e32 v50, 0xbe903f40, v39
	v_add_f32_e32 v0, v24, v0
	v_mad_u32_u24 v24, v27, s0, v26
	v_add_f32_e32 v1, v50, v1
	ds_write2_b64 v24, v[4:5], v[12:13] offset1:1
	ds_write2_b64 v24, v[10:11], v[8:9] offset0:2 offset1:3
	ds_write2_b64 v24, v[6:7], v[2:3] offset0:4 offset1:5
	ds_write2_b64 v24, v[14:15], v[16:17] offset0:6 offset1:7
	ds_write2_b64 v24, v[18:19], v[22:23] offset0:8 offset1:9
	ds_write_b64 v24, v[0:1] offset:80
.LBB0_13:
	s_or_b64 exec, exec, s[2:3]
	s_movk_i32 s0, 0x75
	v_mul_lo_u16_sdwa v0, v27, s0 dst_sel:DWORD dst_unused:UNUSED_PAD src0_sel:BYTE_0 src1_sel:DWORD
	v_sub_u16_sdwa v1, v27, v0 dst_sel:DWORD dst_unused:UNUSED_PAD src0_sel:DWORD src1_sel:BYTE_1
	v_lshrrev_b16_e32 v1, 1, v1
	v_and_b32_e32 v1, 0x7f, v1
	v_add_u16_sdwa v0, v1, v0 dst_sel:DWORD dst_unused:UNUSED_PAD src0_sel:DWORD src1_sel:BYTE_1
	v_lshrrev_b16_e32 v25, 3, v0
	v_mul_lo_u16_e32 v0, 11, v25
	v_sub_u16_e32 v44, v27, v0
	v_mov_b32_e32 v0, 6
	v_lshlrev_b32_sdwa v16, v0, v44 dst_sel:DWORD dst_unused:UNUSED_PAD src0_sel:DWORD src1_sel:BYTE_0
	s_waitcnt lgkmcnt(0)
	; wave barrier
	s_waitcnt lgkmcnt(0)
	global_load_dwordx4 v[0:3], v16, s[8:9]
	global_load_dwordx4 v[4:7], v16, s[8:9] offset:16
	global_load_dwordx4 v[8:11], v16, s[8:9] offset:32
	;; [unrolled: 1-line block ×3, first 2 shown]
	ds_read2_b64 v[16:19], v26 offset1:55
	ds_read2_b64 v[30:33], v26 offset0:110 offset1:165
	ds_read2_b64 v[34:37], v29 offset0:74 offset1:129
	ds_read_b64 v[42:43], v26 offset:3520
	v_add_u32_e32 v24, 0x400, v26
	ds_read2_b64 v[38:41], v24 offset0:92 offset1:147
	v_mov_b32_e32 v29, 3
	v_lshlrev_b32_sdwa v29, v29, v44 dst_sel:DWORD dst_unused:UNUSED_PAD src0_sel:DWORD src1_sel:BYTE_0
	s_waitcnt lgkmcnt(4)
	v_mov_b32_e32 v45, v16
	v_mov_b32_e32 v46, v17
	s_mov_b32 s0, 0xbf248dbb
	s_waitcnt lgkmcnt(0)
	; wave barrier
	s_waitcnt vmcnt(3) lgkmcnt(0)
	v_mul_f32_e32 v44, v1, v19
	v_mul_f32_e32 v1, v1, v18
	;; [unrolled: 1-line block ×4, first 2 shown]
	s_waitcnt vmcnt(2)
	v_mul_f32_e32 v48, v5, v33
	v_mul_f32_e32 v5, v5, v32
	s_waitcnt vmcnt(0)
	v_mul_f32_e32 v53, v43, v15
	v_mul_f32_e32 v15, v42, v15
	;; [unrolled: 1-line block ×6, first 2 shown]
	v_fmac_f32_e32 v44, v0, v18
	v_fma_f32 v0, v0, v19, -v1
	v_fmac_f32_e32 v47, v2, v30
	v_fma_f32 v1, v2, v31, -v3
	v_fma_f32 v2, v4, v33, -v5
	v_fmac_f32_e32 v53, v42, v14
	v_fma_f32 v5, v43, v14, -v15
	v_fmac_f32_e32 v48, v4, v32
	;; [unrolled: 2-line block ×3, first 2 shown]
	v_fma_f32 v4, v37, v12, -v13
	v_add_f32_e32 v30, v44, v53
	v_add_f32_e32 v31, v0, v5
	v_sub_f32_e32 v14, v44, v53
	v_sub_f32_e32 v0, v0, v5
	v_mul_f32_e32 v49, v7, v39
	v_mul_f32_e32 v7, v7, v38
	;; [unrolled: 1-line block ×4, first 2 shown]
	v_fmac_f32_e32 v51, v34, v10
	v_add_f32_e32 v32, v47, v52
	v_add_f32_e32 v33, v1, v4
	v_add_f32_e32 v35, v2, v3
	v_sub_f32_e32 v15, v47, v52
	v_sub_f32_e32 v1, v1, v4
	;; [unrolled: 1-line block ×3, first 2 shown]
	v_mul_f32_e32 v2, 0x3f248dbb, v14
	v_mul_f32_e32 v3, 0x3f248dbb, v0
	v_fmac_f32_e32 v45, 0x3f441b7d, v30
	v_fmac_f32_e32 v46, 0x3f441b7d, v31
	;; [unrolled: 1-line block ×3, first 2 shown]
	v_fma_f32 v18, v6, v39, -v7
	v_fmac_f32_e32 v50, v8, v40
	v_fma_f32 v19, v8, v41, -v9
	v_add_f32_e32 v34, v48, v51
	v_sub_f32_e32 v36, v48, v51
	v_fmac_f32_e32 v2, 0x3f7c1c5c, v15
	v_fmac_f32_e32 v3, 0x3f7c1c5c, v1
	;; [unrolled: 1-line block ×4, first 2 shown]
	v_sub_f32_e32 v38, v49, v50
	v_sub_f32_e32 v39, v18, v19
	v_add_f32_e32 v40, v49, v50
	v_add_f32_e32 v41, v18, v19
	v_fmac_f32_e32 v2, 0x3f5db3d7, v36
	v_fmac_f32_e32 v3, 0x3f5db3d7, v37
	v_fmac_f32_e32 v45, -0.5, v34
	v_fmac_f32_e32 v46, -0.5, v35
	v_fmac_f32_e32 v2, 0x3eaf1d44, v38
	v_fmac_f32_e32 v3, 0x3eaf1d44, v39
	;; [unrolled: 1-line block ×4, first 2 shown]
	v_sub_f32_e32 v8, v45, v3
	v_add_f32_e32 v9, v2, v46
	v_fma_f32 v6, 2.0, v3, v8
	v_fma_f32 v7, -2.0, v2, v9
	v_mov_b32_e32 v2, v16
	v_mov_b32_e32 v3, v17
	v_mul_f32_e32 v5, 0xbf248dbb, v38
	v_mul_f32_e32 v4, 0xbf248dbb, v39
	v_fmac_f32_e32 v2, 0x3f441b7d, v40
	v_fmac_f32_e32 v3, 0x3f441b7d, v41
	;; [unrolled: 1-line block ×8, first 2 shown]
	v_fmac_f32_e32 v2, -0.5, v34
	v_fmac_f32_e32 v3, -0.5, v35
	v_fmac_f32_e32 v5, 0x3eaf1d44, v15
	v_fmac_f32_e32 v4, 0x3eaf1d44, v1
	;; [unrolled: 1-line block ×4, first 2 shown]
	v_sub_f32_e32 v10, v2, v4
	v_add_f32_e32 v11, v5, v3
	v_add_f32_e32 v2, v38, v14
	;; [unrolled: 1-line block ×3, first 2 shown]
	v_mul_f32_e32 v38, 0x3f7c1c5c, v38
	v_mul_f32_e32 v39, 0x3f7c1c5c, v39
	v_sub_f32_e32 v3, v3, v1
	v_fma_f32 v38, v15, s0, -v38
	v_fma_f32 v1, v1, s0, -v39
	v_add_f32_e32 v44, v32, v30
	v_add_f32_e32 v45, v33, v31
	v_fmac_f32_e32 v38, 0x3f5db3d7, v36
	v_fmac_f32_e32 v1, 0x3f5db3d7, v37
	;; [unrolled: 1-line block ×4, first 2 shown]
	v_add_f32_e32 v0, v34, v44
	v_add_f32_e32 v14, v35, v45
	;; [unrolled: 1-line block ×4, first 2 shown]
	v_sub_f32_e32 v2, v2, v15
	v_add_f32_e32 v0, v50, v0
	v_add_f32_e32 v15, v19, v14
	;; [unrolled: 1-line block ×6, first 2 shown]
	v_fmac_f32_e32 v16, 0x3f441b7d, v32
	v_fmac_f32_e32 v17, 0x3f441b7d, v33
	;; [unrolled: 1-line block ×4, first 2 shown]
	v_add_f32_e32 v46, v40, v44
	v_add_f32_e32 v47, v41, v45
	v_fmac_f32_e32 v16, -0.5, v34
	v_fmac_f32_e32 v17, -0.5, v35
	;; [unrolled: 1-line block ×4, first 2 shown]
	v_fmac_f32_e32 v16, 0xbf708fb2, v30
	v_fmac_f32_e32 v17, 0xbf708fb2, v31
	v_mul_u32_u24_e32 v18, 0x318, v25
	v_mul_f32_e32 v42, 0x3f5db3d7, v2
	v_mul_f32_e32 v43, 0x3f5db3d7, v3
	v_fmac_f32_e32 v12, 0xbf5db3d7, v3
	v_fmac_f32_e32 v13, 0x3f5db3d7, v2
	v_sub_f32_e32 v16, v16, v1
	v_add_f32_e32 v17, v38, v17
	v_add3_u32 v18, 0, v18, v29
	v_fma_f32 v4, 2.0, v4, v10
	v_fma_f32 v5, -2.0, v5, v11
	v_fma_f32 v2, 2.0, v43, v12
	v_fma_f32 v3, -2.0, v42, v13
	;; [unrolled: 2-line block ×3, first 2 shown]
	ds_write2_b64 v18, v[14:15], v[8:9] offset1:11
	ds_write2_b64 v18, v[10:11], v[12:13] offset0:22 offset1:33
	ds_write2_b64 v18, v[16:17], v[0:1] offset0:44 offset1:55
	;; [unrolled: 1-line block ×3, first 2 shown]
	ds_write_b64 v18, v[6:7] offset:704
	s_waitcnt lgkmcnt(0)
	; wave barrier
	s_waitcnt lgkmcnt(0)
	ds_read2_b64 v[8:11], v26 offset1:99
	ds_read2_b64 v[12:15], v24 offset0:70 offset1:169
	ds_read_b64 v[18:19], v26 offset:3168
	v_cmp_gt_u32_e64 s[0:1], 44, v27
	s_and_saveexec_b64 s[2:3], s[0:1]
	s_cbranch_execz .LBB0_15
; %bb.14:
	ds_read2_b64 v[0:3], v26 offset0:55 offset1:154
	ds_read2_b64 v[4:7], v24 offset0:125 offset1:224
	ds_read_b64 v[22:23], v26 offset:3608
.LBB0_15:
	s_or_b64 exec, exec, s[2:3]
	v_lshlrev_b32_e32 v16, 2, v27
	v_mov_b32_e32 v17, 0
	v_lshlrev_b64 v[29:30], 3, v[16:17]
	v_mov_b32_e32 v16, s9
	v_add_co_u32_e64 v37, s[2:3], s8, v29
	v_addc_co_u32_e64 v38, s[2:3], v16, v30, s[2:3]
	global_load_dwordx4 v[29:32], v[37:38], off offset:704
	global_load_dwordx4 v[33:36], v[37:38], off offset:720
	s_waitcnt lgkmcnt(0)
	; wave barrier
	s_waitcnt vmcnt(1) lgkmcnt(0)
	v_mul_f32_e32 v16, v30, v11
	v_mul_f32_e32 v25, v30, v10
	;; [unrolled: 1-line block ×4, first 2 shown]
	s_waitcnt vmcnt(0)
	v_mul_f32_e32 v37, v34, v15
	v_mul_f32_e32 v34, v34, v14
	;; [unrolled: 1-line block ×4, first 2 shown]
	v_fmac_f32_e32 v16, v29, v10
	v_fma_f32 v10, v29, v11, -v25
	v_fmac_f32_e32 v30, v31, v12
	v_fma_f32 v11, v31, v13, -v32
	;; [unrolled: 2-line block ×4, first 2 shown]
	v_add_f32_e32 v12, v8, v16
	v_add_f32_e32 v14, v30, v37
	v_sub_f32_e32 v15, v16, v30
	v_sub_f32_e32 v18, v38, v37
	v_add_f32_e32 v34, v9, v10
	v_add_f32_e32 v35, v11, v13
	v_sub_f32_e32 v25, v10, v19
	v_sub_f32_e32 v29, v11, v13
	v_add_f32_e32 v31, v16, v38
	v_sub_f32_e32 v32, v30, v16
	v_sub_f32_e32 v36, v30, v37
	;; [unrolled: 1-line block ×3, first 2 shown]
	v_add_f32_e32 v41, v10, v19
	v_sub_f32_e32 v42, v11, v10
	v_add_f32_e32 v12, v12, v30
	v_fma_f32 v10, -0.5, v14, v8
	v_add_f32_e32 v30, v15, v18
	v_add_f32_e32 v15, v34, v11
	v_fma_f32 v11, -0.5, v35, v9
	v_sub_f32_e32 v16, v16, v38
	v_sub_f32_e32 v40, v19, v13
	;; [unrolled: 1-line block ×3, first 2 shown]
	v_fma_f32 v8, -0.5, v31, v8
	v_fma_f32 v9, -0.5, v41, v9
	v_add_f32_e32 v18, v12, v37
	v_mov_b32_e32 v12, v10
	v_add_f32_e32 v34, v15, v13
	v_mov_b32_e32 v13, v11
	v_sub_f32_e32 v33, v37, v38
	v_mov_b32_e32 v14, v8
	v_mov_b32_e32 v15, v9
	v_fmac_f32_e32 v12, 0xbf737871, v25
	v_fmac_f32_e32 v13, 0x3f737871, v16
	v_add_f32_e32 v31, v32, v33
	v_add_f32_e32 v32, v39, v40
	v_fmac_f32_e32 v10, 0x3f737871, v25
	v_fmac_f32_e32 v8, 0xbf737871, v29
	;; [unrolled: 1-line block ×8, first 2 shown]
	v_add_f32_e32 v33, v42, v43
	v_add_f32_e32 v18, v18, v38
	v_fmac_f32_e32 v10, 0x3f167918, v29
	v_fmac_f32_e32 v8, 0x3f167918, v25
	v_add_f32_e32 v19, v34, v19
	v_fmac_f32_e32 v11, 0xbf167918, v36
	v_fmac_f32_e32 v9, 0xbf167918, v16
	;; [unrolled: 1-line block ×12, first 2 shown]
	ds_write2_b64 v26, v[18:19], v[12:13] offset1:99
	ds_write2_b64 v24, v[14:15], v[8:9] offset0:70 offset1:169
	ds_write_b64 v26, v[10:11] offset:3168
	s_and_saveexec_b64 s[2:3], s[0:1]
	s_cbranch_execz .LBB0_17
; %bb.16:
	v_subrev_u32_e32 v8, 44, v27
	v_cndmask_b32_e64 v8, v8, v28, s[0:1]
	v_lshlrev_b32_e32 v16, 2, v8
	v_lshlrev_b64 v[8:9], 3, v[16:17]
	v_mov_b32_e32 v10, s9
	v_add_co_u32_e64 v16, s[0:1], s8, v8
	v_addc_co_u32_e64 v17, s[0:1], v10, v9, s[0:1]
	global_load_dwordx4 v[8:11], v[16:17], off offset:720
	global_load_dwordx4 v[12:15], v[16:17], off offset:704
	v_add_u32_e32 v16, 0x400, v26
	s_waitcnt vmcnt(1)
	v_mul_f32_e32 v17, v22, v11
	v_mul_f32_e32 v18, v6, v9
	s_waitcnt vmcnt(0)
	v_mul_f32_e32 v19, v4, v15
	v_mul_f32_e32 v24, v2, v13
	;; [unrolled: 1-line block ×6, first 2 shown]
	v_fma_f32 v17, v23, v10, -v17
	v_fma_f32 v7, v7, v8, -v18
	;; [unrolled: 1-line block ×4, first 2 shown]
	v_fmac_f32_e32 v13, v2, v12
	v_fmac_f32_e32 v15, v4, v14
	;; [unrolled: 1-line block ×4, first 2 shown]
	v_add_f32_e32 v2, v1, v3
	v_add_f32_e32 v4, v0, v13
	;; [unrolled: 1-line block ×6, first 2 shown]
	v_sub_f32_e32 v6, v5, v3
	v_sub_f32_e32 v8, v7, v17
	;; [unrolled: 1-line block ×7, first 2 shown]
	v_add_f32_e32 v5, v2, v5
	v_add_f32_e32 v4, v4, v15
	v_fma_f32 v3, -0.5, v12, v1
	v_fmac_f32_e32 v1, -0.5, v22
	v_fma_f32 v2, -0.5, v29, v0
	v_fmac_f32_e32 v0, -0.5, v32
	v_sub_f32_e32 v10, v15, v9
	v_sub_f32_e32 v23, v15, v13
	;; [unrolled: 1-line block ×4, first 2 shown]
	v_add_f32_e32 v15, v6, v8
	v_add_f32_e32 v12, v18, v19
	;; [unrolled: 1-line block ×4, first 2 shown]
	v_mov_b32_e32 v5, v3
	v_mov_b32_e32 v7, v1
	v_fmac_f32_e32 v1, 0x3f737871, v14
	v_mov_b32_e32 v4, v2
	v_mov_b32_e32 v6, v0
	v_fmac_f32_e32 v0, 0xbf737871, v25
	v_sub_f32_e32 v24, v9, v11
	v_add_f32_e32 v13, v13, v31
	v_fmac_f32_e32 v3, 0xbf737871, v10
	v_fmac_f32_e32 v2, 0x3f737871, v30
	;; [unrolled: 1-line block ×8, first 2 shown]
	v_add_f32_e32 v18, v23, v24
	v_add_f32_e32 v9, v8, v17
	;; [unrolled: 1-line block ×3, first 2 shown]
	v_fmac_f32_e32 v3, 0x3f167918, v14
	v_fmac_f32_e32 v2, 0xbf167918, v25
	;; [unrolled: 1-line block ×14, first 2 shown]
	ds_write2_b64 v26, v[8:9], v[0:1] offset0:55 offset1:154
	ds_write2_b64 v16, v[2:3], v[4:5] offset0:125 offset1:224
	ds_write_b64 v26, v[6:7] offset:3608
.LBB0_17:
	s_or_b64 exec, exec, s[2:3]
	s_waitcnt lgkmcnt(0)
	; wave barrier
	s_waitcnt lgkmcnt(0)
	s_and_saveexec_b64 s[0:1], vcc
	s_cbranch_execz .LBB0_19
; %bb.18:
	v_mad_u64_u32 v[4:5], s[0:1], s12, v27, 0
	v_add_co_u32_e32 v10, vcc, s14, v20
	v_mov_b32_e32 v0, v5
	v_mad_u64_u32 v[5:6], s[0:1], s13, v27, v[0:1]
	v_mov_b32_e32 v6, s15
	v_addc_co_u32_e32 v11, vcc, v6, v21, vcc
	v_mad_u64_u32 v[6:7], s[0:1], s12, v28, 0
	ds_read2_b64 v[0:3], v26 offset1:55
	v_add_u32_e32 v12, 0x6e, v27
	v_mad_u64_u32 v[7:8], s[0:1], s13, v28, v[7:8]
	v_lshlrev_b64 v[4:5], 3, v[4:5]
	v_mad_u64_u32 v[8:9], s[0:1], s12, v12, 0
	v_add_co_u32_e32 v4, vcc, v10, v4
	v_addc_co_u32_e32 v5, vcc, v11, v5, vcc
	s_waitcnt lgkmcnt(0)
	global_store_dwordx2 v[4:5], v[0:1], off
	v_mov_b32_e32 v4, v9
	v_mad_u64_u32 v[4:5], s[0:1], s13, v12, v[4:5]
	v_lshlrev_b64 v[0:1], 3, v[6:7]
	v_add_u32_e32 v12, 0xdc, v27
	v_mov_b32_e32 v9, v4
	v_lshlrev_b64 v[4:5], 3, v[8:9]
	v_add_u32_e32 v8, 0xa5, v27
	v_mad_u64_u32 v[6:7], s[0:1], s12, v8, 0
	v_add_co_u32_e32 v0, vcc, v10, v0
	v_addc_co_u32_e32 v1, vcc, v11, v1, vcc
	global_store_dwordx2 v[0:1], v[2:3], off
	ds_read2_b64 v[0:3], v26 offset0:110 offset1:165
	v_mad_u64_u32 v[7:8], s[0:1], s13, v8, v[7:8]
	v_mad_u64_u32 v[8:9], s[0:1], s12, v12, 0
	v_add_co_u32_e32 v4, vcc, v10, v4
	v_addc_co_u32_e32 v5, vcc, v11, v5, vcc
	s_waitcnt lgkmcnt(0)
	global_store_dwordx2 v[4:5], v[0:1], off
	v_mov_b32_e32 v4, v9
	v_mad_u64_u32 v[4:5], s[0:1], s13, v12, v[4:5]
	v_lshlrev_b64 v[0:1], 3, v[6:7]
	v_add_u32_e32 v12, 0x14a, v27
	v_mov_b32_e32 v9, v4
	v_lshlrev_b64 v[4:5], 3, v[8:9]
	v_add_u32_e32 v8, 0x113, v27
	v_mad_u64_u32 v[6:7], s[0:1], s12, v8, 0
	v_add_co_u32_e32 v0, vcc, v10, v0
	v_addc_co_u32_e32 v1, vcc, v11, v1, vcc
	global_store_dwordx2 v[0:1], v[2:3], off
	v_add_u32_e32 v0, 0x400, v26
	ds_read2_b64 v[0:3], v0 offset0:92 offset1:147
	v_mad_u64_u32 v[7:8], s[0:1], s13, v8, v[7:8]
	v_mad_u64_u32 v[8:9], s[0:1], s12, v12, 0
	v_add_co_u32_e32 v4, vcc, v10, v4
	v_addc_co_u32_e32 v5, vcc, v11, v5, vcc
	s_waitcnt lgkmcnt(0)
	global_store_dwordx2 v[4:5], v[0:1], off
	v_mov_b32_e32 v4, v9
	v_mad_u64_u32 v[4:5], s[0:1], s13, v12, v[4:5]
	v_lshlrev_b64 v[0:1], 3, v[6:7]
	v_add_u32_e32 v12, 0x1b8, v27
	v_mov_b32_e32 v9, v4
	v_lshlrev_b64 v[4:5], 3, v[8:9]
	v_add_u32_e32 v8, 0x181, v27
	v_mad_u64_u32 v[6:7], s[0:1], s12, v8, 0
	v_add_co_u32_e32 v0, vcc, v10, v0
	v_addc_co_u32_e32 v1, vcc, v11, v1, vcc
	global_store_dwordx2 v[0:1], v[2:3], off
	v_add_u32_e32 v0, 0x800, v26
	ds_read2_b64 v[0:3], v0 offset0:74 offset1:129
	v_mad_u64_u32 v[7:8], s[0:1], s13, v8, v[7:8]
	v_mad_u64_u32 v[8:9], s[0:1], s12, v12, 0
	v_add_co_u32_e32 v4, vcc, v10, v4
	v_addc_co_u32_e32 v5, vcc, v11, v5, vcc
	s_waitcnt lgkmcnt(0)
	global_store_dwordx2 v[4:5], v[0:1], off
	v_mov_b32_e32 v4, v9
	v_lshlrev_b64 v[0:1], 3, v[6:7]
	v_mad_u64_u32 v[4:5], s[0:1], s13, v12, v[4:5]
	v_add_co_u32_e32 v0, vcc, v10, v0
	v_addc_co_u32_e32 v1, vcc, v11, v1, vcc
	global_store_dwordx2 v[0:1], v[2:3], off
	v_mov_b32_e32 v9, v4
	ds_read_b64 v[0:1], v26 offset:3520
	v_lshlrev_b64 v[2:3], 3, v[8:9]
	v_add_co_u32_e32 v2, vcc, v10, v2
	v_addc_co_u32_e32 v3, vcc, v11, v3, vcc
	s_waitcnt lgkmcnt(0)
	global_store_dwordx2 v[2:3], v[0:1], off
.LBB0_19:
	s_endpgm
	.section	.rodata,"a",@progbits
	.p2align	6, 0x0
	.amdhsa_kernel fft_rtc_back_len495_factors_11_9_5_wgs_55_tpt_55_sp_ip_CI_sbrr_dirReg
		.amdhsa_group_segment_fixed_size 0
		.amdhsa_private_segment_fixed_size 0
		.amdhsa_kernarg_size 88
		.amdhsa_user_sgpr_count 6
		.amdhsa_user_sgpr_private_segment_buffer 1
		.amdhsa_user_sgpr_dispatch_ptr 0
		.amdhsa_user_sgpr_queue_ptr 0
		.amdhsa_user_sgpr_kernarg_segment_ptr 1
		.amdhsa_user_sgpr_dispatch_id 0
		.amdhsa_user_sgpr_flat_scratch_init 0
		.amdhsa_user_sgpr_private_segment_size 0
		.amdhsa_uses_dynamic_stack 0
		.amdhsa_system_sgpr_private_segment_wavefront_offset 0
		.amdhsa_system_sgpr_workgroup_id_x 1
		.amdhsa_system_sgpr_workgroup_id_y 0
		.amdhsa_system_sgpr_workgroup_id_z 0
		.amdhsa_system_sgpr_workgroup_info 0
		.amdhsa_system_vgpr_workitem_id 0
		.amdhsa_next_free_vgpr 82
		.amdhsa_next_free_sgpr 24
		.amdhsa_reserve_vcc 1
		.amdhsa_reserve_flat_scratch 0
		.amdhsa_float_round_mode_32 0
		.amdhsa_float_round_mode_16_64 0
		.amdhsa_float_denorm_mode_32 3
		.amdhsa_float_denorm_mode_16_64 3
		.amdhsa_dx10_clamp 1
		.amdhsa_ieee_mode 1
		.amdhsa_fp16_overflow 0
		.amdhsa_exception_fp_ieee_invalid_op 0
		.amdhsa_exception_fp_denorm_src 0
		.amdhsa_exception_fp_ieee_div_zero 0
		.amdhsa_exception_fp_ieee_overflow 0
		.amdhsa_exception_fp_ieee_underflow 0
		.amdhsa_exception_fp_ieee_inexact 0
		.amdhsa_exception_int_div_zero 0
	.end_amdhsa_kernel
	.text
.Lfunc_end0:
	.size	fft_rtc_back_len495_factors_11_9_5_wgs_55_tpt_55_sp_ip_CI_sbrr_dirReg, .Lfunc_end0-fft_rtc_back_len495_factors_11_9_5_wgs_55_tpt_55_sp_ip_CI_sbrr_dirReg
                                        ; -- End function
	.section	.AMDGPU.csdata,"",@progbits
; Kernel info:
; codeLenInByte = 6688
; NumSgprs: 28
; NumVgprs: 82
; ScratchSize: 0
; MemoryBound: 0
; FloatMode: 240
; IeeeMode: 1
; LDSByteSize: 0 bytes/workgroup (compile time only)
; SGPRBlocks: 3
; VGPRBlocks: 20
; NumSGPRsForWavesPerEU: 28
; NumVGPRsForWavesPerEU: 82
; Occupancy: 3
; WaveLimiterHint : 1
; COMPUTE_PGM_RSRC2:SCRATCH_EN: 0
; COMPUTE_PGM_RSRC2:USER_SGPR: 6
; COMPUTE_PGM_RSRC2:TRAP_HANDLER: 0
; COMPUTE_PGM_RSRC2:TGID_X_EN: 1
; COMPUTE_PGM_RSRC2:TGID_Y_EN: 0
; COMPUTE_PGM_RSRC2:TGID_Z_EN: 0
; COMPUTE_PGM_RSRC2:TIDIG_COMP_CNT: 0
	.type	__hip_cuid_1135e44338d35276,@object ; @__hip_cuid_1135e44338d35276
	.section	.bss,"aw",@nobits
	.globl	__hip_cuid_1135e44338d35276
__hip_cuid_1135e44338d35276:
	.byte	0                               ; 0x0
	.size	__hip_cuid_1135e44338d35276, 1

	.ident	"AMD clang version 19.0.0git (https://github.com/RadeonOpenCompute/llvm-project roc-6.4.0 25133 c7fe45cf4b819c5991fe208aaa96edf142730f1d)"
	.section	".note.GNU-stack","",@progbits
	.addrsig
	.addrsig_sym __hip_cuid_1135e44338d35276
	.amdgpu_metadata
---
amdhsa.kernels:
  - .args:
      - .actual_access:  read_only
        .address_space:  global
        .offset:         0
        .size:           8
        .value_kind:     global_buffer
      - .offset:         8
        .size:           8
        .value_kind:     by_value
      - .actual_access:  read_only
        .address_space:  global
        .offset:         16
        .size:           8
        .value_kind:     global_buffer
      - .actual_access:  read_only
        .address_space:  global
        .offset:         24
        .size:           8
        .value_kind:     global_buffer
      - .offset:         32
        .size:           8
        .value_kind:     by_value
      - .actual_access:  read_only
        .address_space:  global
        .offset:         40
        .size:           8
        .value_kind:     global_buffer
      - .actual_access:  read_only
        .address_space:  global
        .offset:         48
        .size:           8
        .value_kind:     global_buffer
      - .offset:         56
        .size:           4
        .value_kind:     by_value
      - .actual_access:  read_only
        .address_space:  global
        .offset:         64
        .size:           8
        .value_kind:     global_buffer
      - .actual_access:  read_only
        .address_space:  global
        .offset:         72
        .size:           8
        .value_kind:     global_buffer
      - .address_space:  global
        .offset:         80
        .size:           8
        .value_kind:     global_buffer
    .group_segment_fixed_size: 0
    .kernarg_segment_align: 8
    .kernarg_segment_size: 88
    .language:       OpenCL C
    .language_version:
      - 2
      - 0
    .max_flat_workgroup_size: 55
    .name:           fft_rtc_back_len495_factors_11_9_5_wgs_55_tpt_55_sp_ip_CI_sbrr_dirReg
    .private_segment_fixed_size: 0
    .sgpr_count:     28
    .sgpr_spill_count: 0
    .symbol:         fft_rtc_back_len495_factors_11_9_5_wgs_55_tpt_55_sp_ip_CI_sbrr_dirReg.kd
    .uniform_work_group_size: 1
    .uses_dynamic_stack: false
    .vgpr_count:     82
    .vgpr_spill_count: 0
    .wavefront_size: 64
amdhsa.target:   amdgcn-amd-amdhsa--gfx906
amdhsa.version:
  - 1
  - 2
...

	.end_amdgpu_metadata
